;; amdgpu-corpus repo=zjin-lcf/HeCBench kind=compiled arch=gfx906 opt=O3
	.amdgcn_target "amdgcn-amd-amdhsa--gfx906"
	.amdhsa_code_object_version 6
	.text
	.protected	_Z15PTTWAC_soa_astaiiiPfPiS0_ ; -- Begin function _Z15PTTWAC_soa_astaiiiPfPiS0_
	.globl	_Z15PTTWAC_soa_astaiiiPfPiS0_
	.p2align	8
	.type	_Z15PTTWAC_soa_astaiiiPfPiS0_,@function
_Z15PTTWAC_soa_astaiiiPfPiS0_:          ; @_Z15PTTWAC_soa_astaiiiPfPiS0_
; %bb.0:
	s_load_dwordx4 s[12:15], s[4:5], 0x10
	s_load_dwordx2 s[20:21], s[4:5], 0x20
	v_cmp_eq_u32_e64 s[0:1], 0, v0
	s_and_saveexec_b64 s[2:3], s[0:1]
	s_cbranch_execz .LBB0_4
; %bb.1:
	s_mov_b64 s[8:9], exec
	v_mbcnt_lo_u32_b32 v1, s8, 0
	v_mbcnt_hi_u32_b32 v1, s9, v1
	v_cmp_eq_u32_e32 vcc, 0, v1
                                        ; implicit-def: $vgpr2
	s_and_saveexec_b64 s[6:7], vcc
	s_cbranch_execz .LBB0_3
; %bb.2:
	s_bcnt1_i32_b64 s8, s[8:9]
	v_mov_b32_e32 v2, 0
	v_mov_b32_e32 v3, s8
	s_waitcnt lgkmcnt(0)
	global_atomic_add v2, v2, v3, s[20:21] glc
.LBB0_3:
	s_or_b64 exec, exec, s[6:7]
	s_waitcnt vmcnt(0)
	v_readfirstlane_b32 s6, v2
	v_add_u32_e32 v1, s6, v1
	v_mov_b32_e32 v2, 0
	ds_write_b32 v2, v1 offset:4
.LBB0_4:
	s_or_b64 exec, exec, s[2:3]
	s_load_dwordx4 s[16:19], s[4:5], 0x0
	v_mov_b32_e32 v1, 0
	s_waitcnt lgkmcnt(0)
	s_barrier
	ds_read_b32 v2, v1 offset:4
	s_mul_i32 s19, s17, s16
	s_add_i32 s19, s19, -1
	s_waitcnt lgkmcnt(0)
	v_cmp_le_i32_e32 vcc, s19, v2
	v_readfirstlane_b32 s10, v2
	s_cbranch_vccnz .LBB0_53
; %bb.5:
	s_add_u32 s22, s4, 40
	s_addc_u32 s23, s5, 0
	s_abs_i32 s30, s17
	v_cvt_f32_u32_e32 v2, s30
	s_sub_i32 s4, 0, s30
	v_cmp_gt_i32_e64 s[2:3], s18, v0
	s_ashr_i32 s17, s17, 31
	v_rcp_iflag_f32_e32 v2, v2
                                        ; implicit-def: $vgpr3
                                        ; implicit-def: $vgpr4
                                        ; implicit-def: $vgpr5
                                        ; implicit-def: $vgpr6
	v_mul_f32_e32 v2, 0x4f7ffffe, v2
	v_cvt_u32_f32_e32 v2, v2
	v_readfirstlane_b32 s5, v2
	s_mul_i32 s4, s4, s5
	s_mul_hi_u32 s4, s5, s4
	s_add_i32 s31, s5, s4
	v_mov_b32_e32 v2, 1
	s_branch .LBB0_9
.LBB0_6:                                ;   in Loop: Header=BB0_9 Depth=1
	s_or_b64 exec, exec, s[6:7]
	s_waitcnt vmcnt(0)
	v_readfirstlane_b32 s6, v8
	v_add_u32_e32 v7, s6, v7
	ds_write_b32 v1, v7 offset:4
.LBB0_7:                                ;   in Loop: Header=BB0_9 Depth=1
	s_or_b64 exec, exec, s[4:5]
	v_mov_b32_e32 v11, v3
	v_mov_b32_e32 v10, v4
	;; [unrolled: 1-line block ×4, first 2 shown]
	s_waitcnt lgkmcnt(0)
	s_barrier
.LBB0_8:                                ;   in Loop: Header=BB0_9 Depth=1
	ds_read_b32 v5, v1 offset:4
	v_mov_b32_e32 v3, v11
	v_mov_b32_e32 v4, v10
	;; [unrolled: 1-line block ×3, first 2 shown]
	s_waitcnt lgkmcnt(0)
	v_cmp_gt_i32_e32 vcc, s19, v5
	v_readfirstlane_b32 s10, v5
	v_mov_b32_e32 v5, v8
	s_cbranch_vccz .LBB0_53
.LBB0_9:                                ; =>This Loop Header: Depth=1
                                        ;     Child Loop BB0_34 Depth 2
	s_abs_i32 s6, s10
	s_mul_hi_u32 s7, s6, s31
	s_mul_i32 s8, s7, s30
	s_ashr_i32 s11, s10, 31
	s_sub_i32 s6, s6, s8
	s_xor_b32 s5, s11, s17
	s_add_i32 s8, s7, 1
	s_sub_i32 s9, s6, s30
	s_cmp_ge_u32 s6, s30
	s_cselect_b32 s7, s8, s7
	s_cselect_b32 s6, s9, s6
	s_add_i32 s8, s7, 1
	s_cmp_ge_u32 s6, s30
	s_cselect_b32 s6, s8, s7
	s_xor_b32 s6, s6, s5
	s_sub_i32 s5, s6, s5
	s_mul_i32 s4, s10, s16
	s_mul_i32 s5, s5, s19
	s_sub_i32 s24, s4, s5
	s_cmp_lg_u32 s24, s10
	s_mov_b64 s[4:5], -1
                                        ; implicit-def: $vgpr11
                                        ; implicit-def: $vgpr10
                                        ; implicit-def: $vgpr8
                                        ; implicit-def: $vgpr7
	s_cbranch_scc0 .LBB0_28
; %bb.10:                               ;   in Loop: Header=BB0_9 Depth=1
	v_mov_b32_e32 v7, v6
	s_and_saveexec_b64 s[4:5], s[2:3]
	s_cbranch_execz .LBB0_12
; %bb.11:                               ;   in Loop: Header=BB0_9 Depth=1
	s_mul_i32 s6, s10, s18
	v_add_u32_e32 v7, s6, v0
	v_ashrrev_i32_e32 v8, 31, v7
	v_lshlrev_b64 v[7:8], 2, v[7:8]
	v_mov_b32_e32 v9, s13
	v_add_co_u32_e32 v7, vcc, s12, v7
	v_addc_co_u32_e32 v8, vcc, v9, v8, vcc
	global_load_dword v7, v[7:8], off
.LBB0_12:                               ;   in Loop: Header=BB0_9 Depth=1
	s_or_b64 exec, exec, s[4:5]
	s_load_dword s4, s[22:23], 0xc
	v_mov_b32_e32 v8, v5
	s_waitcnt lgkmcnt(0)
	s_and_b32 s25, s4, 0xffff
	v_add_u32_e32 v9, s25, v0
	v_cmp_gt_i32_e64 s[4:5], s18, v9
	s_and_saveexec_b64 s[6:7], s[4:5]
	s_cbranch_execz .LBB0_14
; %bb.13:                               ;   in Loop: Header=BB0_9 Depth=1
	s_mul_i32 s8, s10, s18
	v_add_u32_e32 v10, s8, v9
	v_ashrrev_i32_e32 v11, 31, v10
	v_lshlrev_b64 v[10:11], 2, v[10:11]
	v_mov_b32_e32 v8, s13
	v_add_co_u32_e32 v10, vcc, s12, v10
	v_addc_co_u32_e32 v11, vcc, v8, v11, vcc
	global_load_dword v8, v[10:11], off
.LBB0_14:                               ;   in Loop: Header=BB0_9 Depth=1
	s_or_b64 exec, exec, s[6:7]
	v_add_u32_e32 v12, s25, v9
	v_cmp_gt_i32_e64 s[6:7], s18, v12
	v_mov_b32_e32 v10, v4
	s_and_saveexec_b64 s[8:9], s[6:7]
	s_cbranch_execz .LBB0_16
; %bb.15:                               ;   in Loop: Header=BB0_9 Depth=1
	s_mul_i32 s26, s10, s18
	v_add_u32_e32 v10, s26, v12
	v_ashrrev_i32_e32 v11, 31, v10
	v_lshlrev_b64 v[10:11], 2, v[10:11]
	v_mov_b32_e32 v13, s13
	v_add_co_u32_e32 v10, vcc, s12, v10
	v_addc_co_u32_e32 v11, vcc, v13, v11, vcc
	global_load_dword v10, v[10:11], off
.LBB0_16:                               ;   in Loop: Header=BB0_9 Depth=1
	s_or_b64 exec, exec, s[8:9]
	v_add_u32_e32 v13, s25, v12
	v_cmp_gt_i32_e64 s[8:9], s18, v13
	v_mov_b32_e32 v11, v3
	s_and_saveexec_b64 s[26:27], s[8:9]
	s_cbranch_execz .LBB0_18
; %bb.17:                               ;   in Loop: Header=BB0_9 Depth=1
	s_mul_i32 s25, s10, s18
	v_add_u32_e32 v14, s25, v13
	v_ashrrev_i32_e32 v15, 31, v14
	v_lshlrev_b64 v[14:15], 2, v[14:15]
	v_mov_b32_e32 v11, s13
	v_add_co_u32_e32 v14, vcc, s12, v14
	v_addc_co_u32_e32 v15, vcc, v11, v15, vcc
	global_load_dword v11, v[14:15], off
.LBB0_18:                               ;   in Loop: Header=BB0_9 Depth=1
	s_or_b64 exec, exec, s[26:27]
	s_and_saveexec_b64 s[26:27], s[0:1]
	s_cbranch_execz .LBB0_22
; %bb.19:                               ;   in Loop: Header=BB0_9 Depth=1
	v_mbcnt_lo_u32_b32 v14, exec_lo, 0
	v_mbcnt_hi_u32_b32 v14, exec_hi, v14
	v_cmp_eq_u32_e32 vcc, 0, v14
                                        ; implicit-def: $vgpr14
	s_and_saveexec_b64 s[28:29], vcc
	s_cbranch_execz .LBB0_21
; %bb.20:                               ;   in Loop: Header=BB0_9 Depth=1
	s_lshl_b64 s[10:11], s[10:11], 2
	s_add_u32 s10, s14, s10
	s_addc_u32 s11, s15, s11
	global_load_dword v14, v1, s[10:11] glc
.LBB0_21:                               ;   in Loop: Header=BB0_9 Depth=1
	s_or_b64 exec, exec, s[28:29]
	s_waitcnt vmcnt(0)
	v_readfirstlane_b32 s10, v14
	v_mov_b32_e32 v14, s10
	ds_write_b32 v1, v14
.LBB0_22:                               ;   in Loop: Header=BB0_9 Depth=1
	s_or_b64 exec, exec, s[26:27]
	s_waitcnt vmcnt(0) lgkmcnt(0)
	s_barrier
	ds_read_b32 v14, v1
	s_waitcnt lgkmcnt(0)
	v_cmp_ne_u32_e32 vcc, 0, v14
	s_cbranch_vccz .LBB0_34
.LBB0_23:                               ;   in Loop: Header=BB0_9 Depth=1
	s_and_saveexec_b64 s[4:5], s[0:1]
	s_cbranch_execz .LBB0_27
; %bb.24:                               ;   in Loop: Header=BB0_9 Depth=1
	s_mov_b64 s[8:9], exec
	v_mbcnt_lo_u32_b32 v9, s8, 0
	v_mbcnt_hi_u32_b32 v9, s9, v9
	v_cmp_eq_u32_e32 vcc, 0, v9
                                        ; implicit-def: $vgpr12
	s_and_saveexec_b64 s[6:7], vcc
	s_cbranch_execz .LBB0_26
; %bb.25:                               ;   in Loop: Header=BB0_9 Depth=1
	s_bcnt1_i32_b64 s8, s[8:9]
	v_mov_b32_e32 v12, s8
	global_atomic_add v12, v1, v12, s[20:21] glc
.LBB0_26:                               ;   in Loop: Header=BB0_9 Depth=1
	s_or_b64 exec, exec, s[6:7]
	s_waitcnt vmcnt(0)
	v_readfirstlane_b32 s6, v12
	v_add_u32_e32 v9, s6, v9
	ds_write_b32 v1, v9 offset:4
.LBB0_27:                               ;   in Loop: Header=BB0_9 Depth=1
	s_or_b64 exec, exec, s[4:5]
	s_mov_b64 s[4:5], 0
	s_waitcnt vmcnt(0) lgkmcnt(0)
	s_barrier
.LBB0_28:                               ;   in Loop: Header=BB0_9 Depth=1
	s_and_b64 vcc, exec, s[4:5]
	s_cbranch_vccz .LBB0_8
; %bb.29:                               ;   in Loop: Header=BB0_9 Depth=1
	s_barrier
	s_and_saveexec_b64 s[4:5], s[0:1]
	s_cbranch_execz .LBB0_7
; %bb.30:                               ;   in Loop: Header=BB0_9 Depth=1
	s_mov_b64 s[8:9], exec
	v_mbcnt_lo_u32_b32 v7, s8, 0
	v_mbcnt_hi_u32_b32 v7, s9, v7
	v_cmp_eq_u32_e32 vcc, 0, v7
                                        ; implicit-def: $vgpr8
	s_and_saveexec_b64 s[6:7], vcc
	s_cbranch_execz .LBB0_6
; %bb.31:                               ;   in Loop: Header=BB0_9 Depth=1
	s_bcnt1_i32_b64 s8, s[8:9]
	v_mov_b32_e32 v8, s8
	global_atomic_add v8, v1, v8, s[20:21] glc
	s_branch .LBB0_6
.LBB0_32:                               ;   in Loop: Header=BB0_34 Depth=2
	s_or_b64 exec, exec, s[26:27]
.LBB0_33:                               ;   in Loop: Header=BB0_34 Depth=2
	s_mul_i32 s25, s24, s16
	s_ashr_i32 s26, s24, 31
	s_abs_i32 s24, s24
	s_mul_hi_u32 s27, s24, s31
	s_mul_i32 s28, s27, s30
	s_sub_i32 s24, s24, s28
	s_xor_b32 s26, s26, s17
	s_add_i32 s28, s27, 1
	s_sub_i32 s29, s24, s30
	s_cmp_ge_u32 s24, s30
	s_cselect_b32 s27, s28, s27
	s_cselect_b32 s24, s29, s24
	s_add_i32 s28, s27, 1
	s_cmp_ge_u32 s24, s30
	s_cselect_b32 s24, s28, s27
	s_xor_b32 s24, s24, s26
	s_sub_i32 s24, s24, s26
	s_mul_i32 s24, s24, s19
	s_andn2_b64 vcc, exec, s[10:11]
	s_sub_i32 s24, s25, s24
	v_mov_b32_e32 v11, v17
	v_mov_b32_e32 v10, v16
	;; [unrolled: 1-line block ×4, first 2 shown]
	s_cbranch_vccz .LBB0_23
.LBB0_34:                               ;   Parent Loop BB0_9 Depth=1
                                        ; =>  This Inner Loop Header: Depth=2
	v_mov_b32_e32 v14, v7
	s_and_saveexec_b64 s[10:11], s[2:3]
	s_cbranch_execnz .LBB0_46
; %bb.35:                               ;   in Loop: Header=BB0_34 Depth=2
	s_or_b64 exec, exec, s[10:11]
	v_mov_b32_e32 v15, v8
	s_and_saveexec_b64 s[10:11], s[4:5]
	s_cbranch_execnz .LBB0_47
.LBB0_36:                               ;   in Loop: Header=BB0_34 Depth=2
	s_or_b64 exec, exec, s[10:11]
	v_mov_b32_e32 v16, v10
	s_and_saveexec_b64 s[10:11], s[6:7]
	s_cbranch_execnz .LBB0_48
.LBB0_37:                               ;   in Loop: Header=BB0_34 Depth=2
	s_or_b64 exec, exec, s[10:11]
	v_mov_b32_e32 v17, v11
	s_and_saveexec_b64 s[10:11], s[8:9]
	s_cbranch_execz .LBB0_39
.LBB0_38:                               ;   in Loop: Header=BB0_34 Depth=2
	s_mul_i32 s25, s24, s18
	v_add_u32_e32 v17, s25, v13
	v_ashrrev_i32_e32 v18, 31, v17
	v_lshlrev_b64 v[17:18], 2, v[17:18]
	v_mov_b32_e32 v19, s13
	v_add_co_u32_e32 v17, vcc, s12, v17
	v_addc_co_u32_e32 v18, vcc, v19, v18, vcc
	global_load_dword v17, v[17:18], off
.LBB0_39:                               ;   in Loop: Header=BB0_34 Depth=2
	s_or_b64 exec, exec, s[10:11]
	s_waitcnt vmcnt(0)
	s_barrier
	s_and_saveexec_b64 s[10:11], s[0:1]
	s_cbranch_execz .LBB0_41
; %bb.40:                               ;   in Loop: Header=BB0_34 Depth=2
	s_ashr_i32 s25, s24, 31
	s_lshl_b64 s[26:27], s[24:25], 2
	s_add_u32 s26, s14, s26
	s_addc_u32 s27, s15, s27
	global_atomic_swap v18, v1, v2, s[26:27] glc
	s_waitcnt vmcnt(0)
	ds_write_b32 v1, v18
.LBB0_41:                               ;   in Loop: Header=BB0_34 Depth=2
	s_or_b64 exec, exec, s[10:11]
	s_waitcnt lgkmcnt(0)
	s_barrier
	ds_read_b32 v18, v1
	s_waitcnt lgkmcnt(0)
	v_cmp_ne_u32_e64 s[10:11], 0, v18
	s_and_b64 vcc, exec, s[10:11]
	s_cbranch_vccnz .LBB0_33
; %bb.42:                               ;   in Loop: Header=BB0_34 Depth=2
	s_mul_i32 s25, s24, s18
	s_and_saveexec_b64 s[26:27], s[2:3]
	s_cbranch_execnz .LBB0_49
; %bb.43:                               ;   in Loop: Header=BB0_34 Depth=2
	s_or_b64 exec, exec, s[26:27]
	s_and_saveexec_b64 s[26:27], s[4:5]
	s_cbranch_execnz .LBB0_50
.LBB0_44:                               ;   in Loop: Header=BB0_34 Depth=2
	s_or_b64 exec, exec, s[26:27]
	s_and_saveexec_b64 s[26:27], s[6:7]
	s_cbranch_execnz .LBB0_51
.LBB0_45:                               ;   in Loop: Header=BB0_34 Depth=2
	s_or_b64 exec, exec, s[26:27]
	s_and_saveexec_b64 s[26:27], s[8:9]
	s_cbranch_execz .LBB0_32
	s_branch .LBB0_52
.LBB0_46:                               ;   in Loop: Header=BB0_34 Depth=2
	s_mul_i32 s25, s24, s18
	v_add_u32_e32 v14, s25, v0
	v_ashrrev_i32_e32 v15, 31, v14
	v_lshlrev_b64 v[14:15], 2, v[14:15]
	v_mov_b32_e32 v16, s13
	v_add_co_u32_e32 v14, vcc, s12, v14
	v_addc_co_u32_e32 v15, vcc, v16, v15, vcc
	global_load_dword v14, v[14:15], off
	s_or_b64 exec, exec, s[10:11]
	v_mov_b32_e32 v15, v8
	s_and_saveexec_b64 s[10:11], s[4:5]
	s_cbranch_execz .LBB0_36
.LBB0_47:                               ;   in Loop: Header=BB0_34 Depth=2
	s_mul_i32 s25, s24, s18
	v_add_u32_e32 v15, s25, v9
	v_ashrrev_i32_e32 v16, 31, v15
	v_lshlrev_b64 v[15:16], 2, v[15:16]
	v_mov_b32_e32 v17, s13
	v_add_co_u32_e32 v15, vcc, s12, v15
	v_addc_co_u32_e32 v16, vcc, v17, v16, vcc
	global_load_dword v15, v[15:16], off
	s_or_b64 exec, exec, s[10:11]
	v_mov_b32_e32 v16, v10
	s_and_saveexec_b64 s[10:11], s[6:7]
	s_cbranch_execz .LBB0_37
.LBB0_48:                               ;   in Loop: Header=BB0_34 Depth=2
	s_mul_i32 s25, s24, s18
	v_add_u32_e32 v16, s25, v12
	v_ashrrev_i32_e32 v17, 31, v16
	v_lshlrev_b64 v[16:17], 2, v[16:17]
	v_mov_b32_e32 v18, s13
	v_add_co_u32_e32 v16, vcc, s12, v16
	v_addc_co_u32_e32 v17, vcc, v18, v17, vcc
	global_load_dword v16, v[16:17], off
	s_or_b64 exec, exec, s[10:11]
	v_mov_b32_e32 v17, v11
	s_and_saveexec_b64 s[10:11], s[8:9]
	s_cbranch_execnz .LBB0_38
	s_branch .LBB0_39
.LBB0_49:                               ;   in Loop: Header=BB0_34 Depth=2
	v_add_u32_e32 v18, s25, v0
	v_ashrrev_i32_e32 v19, 31, v18
	v_lshlrev_b64 v[18:19], 2, v[18:19]
	v_mov_b32_e32 v20, s13
	v_add_co_u32_e32 v18, vcc, s12, v18
	v_addc_co_u32_e32 v19, vcc, v20, v19, vcc
	global_store_dword v[18:19], v7, off
	s_or_b64 exec, exec, s[26:27]
	s_and_saveexec_b64 s[26:27], s[4:5]
	s_cbranch_execz .LBB0_44
.LBB0_50:                               ;   in Loop: Header=BB0_34 Depth=2
	v_add_u32_e32 v18, s25, v9
	v_ashrrev_i32_e32 v19, 31, v18
	v_lshlrev_b64 v[18:19], 2, v[18:19]
	v_mov_b32_e32 v7, s13
	v_add_co_u32_e32 v18, vcc, s12, v18
	v_addc_co_u32_e32 v19, vcc, v7, v19, vcc
	global_store_dword v[18:19], v8, off
	s_or_b64 exec, exec, s[26:27]
	s_and_saveexec_b64 s[26:27], s[6:7]
	s_cbranch_execz .LBB0_45
.LBB0_51:                               ;   in Loop: Header=BB0_34 Depth=2
	v_add_u32_e32 v7, s25, v12
	v_ashrrev_i32_e32 v8, 31, v7
	v_lshlrev_b64 v[7:8], 2, v[7:8]
	v_mov_b32_e32 v18, s13
	v_add_co_u32_e32 v7, vcc, s12, v7
	v_addc_co_u32_e32 v8, vcc, v18, v8, vcc
	global_store_dword v[7:8], v10, off
	s_or_b64 exec, exec, s[26:27]
	s_and_saveexec_b64 s[26:27], s[8:9]
	s_cbranch_execz .LBB0_32
.LBB0_52:                               ;   in Loop: Header=BB0_34 Depth=2
	v_add_u32_e32 v7, s25, v13
	v_ashrrev_i32_e32 v8, 31, v7
	v_lshlrev_b64 v[7:8], 2, v[7:8]
	v_mov_b32_e32 v10, s13
	v_add_co_u32_e32 v7, vcc, s12, v7
	v_addc_co_u32_e32 v8, vcc, v10, v8, vcc
	global_store_dword v[7:8], v11, off
	s_branch .LBB0_32
.LBB0_53:
	s_endpgm
	.section	.rodata,"a",@progbits
	.p2align	6, 0x0
	.amdhsa_kernel _Z15PTTWAC_soa_astaiiiPfPiS0_
		.amdhsa_group_segment_fixed_size 8
		.amdhsa_private_segment_fixed_size 0
		.amdhsa_kernarg_size 296
		.amdhsa_user_sgpr_count 6
		.amdhsa_user_sgpr_private_segment_buffer 1
		.amdhsa_user_sgpr_dispatch_ptr 0
		.amdhsa_user_sgpr_queue_ptr 0
		.amdhsa_user_sgpr_kernarg_segment_ptr 1
		.amdhsa_user_sgpr_dispatch_id 0
		.amdhsa_user_sgpr_flat_scratch_init 0
		.amdhsa_user_sgpr_private_segment_size 0
		.amdhsa_uses_dynamic_stack 0
		.amdhsa_system_sgpr_private_segment_wavefront_offset 0
		.amdhsa_system_sgpr_workgroup_id_x 1
		.amdhsa_system_sgpr_workgroup_id_y 0
		.amdhsa_system_sgpr_workgroup_id_z 0
		.amdhsa_system_sgpr_workgroup_info 0
		.amdhsa_system_vgpr_workitem_id 0
		.amdhsa_next_free_vgpr 21
		.amdhsa_next_free_sgpr 32
		.amdhsa_reserve_vcc 1
		.amdhsa_reserve_flat_scratch 0
		.amdhsa_float_round_mode_32 0
		.amdhsa_float_round_mode_16_64 0
		.amdhsa_float_denorm_mode_32 3
		.amdhsa_float_denorm_mode_16_64 3
		.amdhsa_dx10_clamp 1
		.amdhsa_ieee_mode 1
		.amdhsa_fp16_overflow 0
		.amdhsa_exception_fp_ieee_invalid_op 0
		.amdhsa_exception_fp_denorm_src 0
		.amdhsa_exception_fp_ieee_div_zero 0
		.amdhsa_exception_fp_ieee_overflow 0
		.amdhsa_exception_fp_ieee_underflow 0
		.amdhsa_exception_fp_ieee_inexact 0
		.amdhsa_exception_int_div_zero 0
	.end_amdhsa_kernel
	.text
.Lfunc_end0:
	.size	_Z15PTTWAC_soa_astaiiiPfPiS0_, .Lfunc_end0-_Z15PTTWAC_soa_astaiiiPfPiS0_
                                        ; -- End function
	.set _Z15PTTWAC_soa_astaiiiPfPiS0_.num_vgpr, 21
	.set _Z15PTTWAC_soa_astaiiiPfPiS0_.num_agpr, 0
	.set _Z15PTTWAC_soa_astaiiiPfPiS0_.numbered_sgpr, 32
	.set _Z15PTTWAC_soa_astaiiiPfPiS0_.num_named_barrier, 0
	.set _Z15PTTWAC_soa_astaiiiPfPiS0_.private_seg_size, 0
	.set _Z15PTTWAC_soa_astaiiiPfPiS0_.uses_vcc, 1
	.set _Z15PTTWAC_soa_astaiiiPfPiS0_.uses_flat_scratch, 0
	.set _Z15PTTWAC_soa_astaiiiPfPiS0_.has_dyn_sized_stack, 0
	.set _Z15PTTWAC_soa_astaiiiPfPiS0_.has_recursion, 0
	.set _Z15PTTWAC_soa_astaiiiPfPiS0_.has_indirect_call, 0
	.section	.AMDGPU.csdata,"",@progbits
; Kernel info:
; codeLenInByte = 1696
; TotalNumSgprs: 36
; NumVgprs: 21
; ScratchSize: 0
; MemoryBound: 0
; FloatMode: 240
; IeeeMode: 1
; LDSByteSize: 8 bytes/workgroup (compile time only)
; SGPRBlocks: 4
; VGPRBlocks: 5
; NumSGPRsForWavesPerEU: 36
; NumVGPRsForWavesPerEU: 21
; Occupancy: 10
; WaveLimiterHint : 0
; COMPUTE_PGM_RSRC2:SCRATCH_EN: 0
; COMPUTE_PGM_RSRC2:USER_SGPR: 6
; COMPUTE_PGM_RSRC2:TRAP_HANDLER: 0
; COMPUTE_PGM_RSRC2:TGID_X_EN: 1
; COMPUTE_PGM_RSRC2:TGID_Y_EN: 0
; COMPUTE_PGM_RSRC2:TGID_Z_EN: 0
; COMPUTE_PGM_RSRC2:TIDIG_COMP_CNT: 0
	.section	.AMDGPU.gpr_maximums,"",@progbits
	.set amdgpu.max_num_vgpr, 0
	.set amdgpu.max_num_agpr, 0
	.set amdgpu.max_num_sgpr, 0
	.section	.AMDGPU.csdata,"",@progbits
	.type	__hip_cuid_dff6761f7f61a013,@object ; @__hip_cuid_dff6761f7f61a013
	.section	.bss,"aw",@nobits
	.globl	__hip_cuid_dff6761f7f61a013
__hip_cuid_dff6761f7f61a013:
	.byte	0                               ; 0x0
	.size	__hip_cuid_dff6761f7f61a013, 1

	.ident	"AMD clang version 22.0.0git (https://github.com/RadeonOpenCompute/llvm-project roc-7.2.4 26084 f58b06dce1f9c15707c5f808fd002e18c2accf7e)"
	.section	".note.GNU-stack","",@progbits
	.addrsig
	.addrsig_sym __hip_cuid_dff6761f7f61a013
	.amdgpu_metadata
---
amdhsa.kernels:
  - .args:
      - .offset:         0
        .size:           4
        .value_kind:     by_value
      - .offset:         4
        .size:           4
        .value_kind:     by_value
      - .offset:         8
        .size:           4
        .value_kind:     by_value
      - .address_space:  global
        .offset:         16
        .size:           8
        .value_kind:     global_buffer
      - .address_space:  global
        .offset:         24
        .size:           8
        .value_kind:     global_buffer
      - .address_space:  global
        .offset:         32
        .size:           8
        .value_kind:     global_buffer
      - .offset:         40
        .size:           4
        .value_kind:     hidden_block_count_x
      - .offset:         44
        .size:           4
        .value_kind:     hidden_block_count_y
      - .offset:         48
        .size:           4
        .value_kind:     hidden_block_count_z
      - .offset:         52
        .size:           2
        .value_kind:     hidden_group_size_x
      - .offset:         54
        .size:           2
        .value_kind:     hidden_group_size_y
      - .offset:         56
        .size:           2
        .value_kind:     hidden_group_size_z
      - .offset:         58
        .size:           2
        .value_kind:     hidden_remainder_x
      - .offset:         60
        .size:           2
        .value_kind:     hidden_remainder_y
      - .offset:         62
        .size:           2
        .value_kind:     hidden_remainder_z
      - .offset:         80
        .size:           8
        .value_kind:     hidden_global_offset_x
      - .offset:         88
        .size:           8
        .value_kind:     hidden_global_offset_y
      - .offset:         96
        .size:           8
        .value_kind:     hidden_global_offset_z
      - .offset:         104
        .size:           2
        .value_kind:     hidden_grid_dims
    .group_segment_fixed_size: 8
    .kernarg_segment_align: 8
    .kernarg_segment_size: 296
    .language:       OpenCL C
    .language_version:
      - 2
      - 0
    .max_flat_workgroup_size: 1024
    .name:           _Z15PTTWAC_soa_astaiiiPfPiS0_
    .private_segment_fixed_size: 0
    .sgpr_count:     36
    .sgpr_spill_count: 0
    .symbol:         _Z15PTTWAC_soa_astaiiiPfPiS0_.kd
    .uniform_work_group_size: 1
    .uses_dynamic_stack: false
    .vgpr_count:     21
    .vgpr_spill_count: 0
    .wavefront_size: 64
amdhsa.target:   amdgcn-amd-amdhsa--gfx906
amdhsa.version:
  - 1
  - 2
...

	.end_amdgpu_metadata
